;; amdgpu-corpus repo=zjin-lcf/HeCBench kind=compiled arch=gfx950 opt=O3
	.amdgcn_target "amdgcn-amd-amdhsa--gfx950"
	.amdhsa_code_object_version 6
	.text
	.protected	_Z5colorPhiiff          ; -- Begin function _Z5colorPhiiff
	.globl	_Z5colorPhiiff
	.p2align	8
	.type	_Z5colorPhiiff,@function
_Z5colorPhiiff:                         ; @_Z5colorPhiiff
; %bb.0:
	s_load_dword s4, s[0:1], 0x24
	s_load_dwordx4 s[8:11], s[0:1], 0x8
	v_and_b32_e32 v1, 0x3ff, v0
	v_bfe_u32 v0, v0, 10, 10
	s_waitcnt lgkmcnt(0)
	s_and_b32 s5, s4, 0xffff
	s_lshr_b32 s4, s4, 16
	s_mul_i32 s3, s3, s4
	s_mul_i32 s2, s2, s5
	v_add_u32_e32 v8, s2, v1
	v_add_u32_e32 v12, s3, v0
	v_max_i32_e32 v0, v12, v8
	v_cmp_gt_i32_e32 vcc, s8, v0
	s_and_saveexec_b64 s[2:3], vcc
	s_cbranch_execz .LBB0_3
; %bb.1:
	v_cmp_ne_u32_e32 vcc, s9, v8
	v_cmp_ne_u32_e64 s[2:3], s9, v12
	s_and_b64 s[2:3], s[2:3], vcc
	s_and_b64 exec, exec, s[2:3]
	s_cbranch_execz .LBB0_3
; %bb.2:
	v_mov_b32_e32 v5, 0
	v_mov_b32_e32 v6, 0xff
	;; [unrolled: 1-line block ×6, first 2 shown]
	s_mov_b32 s5, 0
	s_movk_i32 s4, 0xff
	scratch_store_dwordx4 off, v[0:3], off offset:32
	s_mov_b32 s6, s5
	s_mov_b32 s7, s4
	v_mov_b32_e32 v1, 0x44
	v_mov_b32_e32 v0, v6
	;; [unrolled: 1-line block ×4, first 2 shown]
	scratch_store_dwordx4 off, v[0:3], off offset:48
	v_mov_b64_e32 v[32:33], s[6:7]
	v_mov_b32_e32 v4, 17
	v_mov_b32_e32 v2, 0x77
	;; [unrolled: 1-line block ×6, first 2 shown]
	scratch_store_dwordx4 off, v[0:3], off offset:80
	v_mov_b64_e32 v[30:31], s[4:5]
	scratch_store_dwordx4 off, v[4:7], off offset:16
	v_mov_b32_e32 v1, 0x88
	v_mov_b32_e32 v0, v6
	;; [unrolled: 1-line block ×6, first 2 shown]
	scratch_store_dwordx4 off, v[0:3], off offset:96
	s_mov_b32 s22, s4
	s_mov_b32 s23, s5
	v_mov_b32_e32 v2, 0xbb
	v_mov_b32_e32 v0, v5
	;; [unrolled: 1-line block ×4, first 2 shown]
	s_movk_i32 s16, 0xd5
	s_mov_b32 s17, s4
	s_movk_i32 s6, 0x80
	s_mov_b32 s14, s4
	s_mov_b32 s15, s5
	s_movk_i32 s13, 0x55
	scratch_store_dwordx4 off, v[4:7], off offset:64
	s_movk_i32 s19, 0xaa
	scratch_store_dwordx4 off, v[0:3], off offset:128
	v_mov_b32_e32 v4, 0x99
	v_mov_b32_e32 v7, 0xaa
	v_mov_b32_e32 v1, 0xcc
	v_mov_b32_e32 v0, v6
	v_mov_b32_e32 v2, v5
	v_mov_b32_e32 v3, v6
	s_mov_b32 s20, s5
	s_mov_b32 s21, s4
	v_mov_b64_e32 v[28:29], s[22:23]
	s_mov_b32 s18, s5
	v_mov_b64_e32 v[14:15], s[16:17]
	v_mov_b64_e32 v[20:21], s[6:7]
	s_mov_b32 s12, s5
	v_mov_b64_e32 v[24:25], s[14:15]
	scratch_store_dwordx4 off, v[4:7], off offset:112
	scratch_store_dwordx4 off, v[0:3], off offset:144
	v_mov_b64_e32 v[26:27], s[20:21]
	v_mov_b32_e32 v4, 0xdd
	v_mov_b32_e32 v7, 0xee
	v_mov_b64_e32 v[16:17], s[18:19]
	v_mov_b64_e32 v[18:19], s[4:5]
	;; [unrolled: 1-line block ×3, first 2 shown]
	v_mov_b32_e32 v0, 43
	v_mov_b32_e32 v1, v6
	;; [unrolled: 1-line block ×3, first 2 shown]
	scratch_store_dwordx4 off, v[30:33], off
	scratch_store_dwordx4 off, v[4:7], off offset:160
	scratch_store_dwordx4 off, v[26:29], off offset:176
	;; [unrolled: 1-line block ×7, first 2 shown]
	v_cvt_f32_i32_e32 v11, v12
	v_cvt_f32_i32_e32 v10, s9
	v_mov_b32_e32 v32, 0xbf
	v_mov_b32_e32 v30, v5
	;; [unrolled: 1-line block ×4, first 2 shown]
	scratch_store_dwordx4 off, v[30:33], off offset:288
	v_div_scale_f32 v1, s[2:3], v10, v10, v11
	s_nop 0
	v_mov_b32_e32 v33, 0xe8
	v_mov_b32_e32 v30, v6
	;; [unrolled: 1-line block ×4, first 2 shown]
	scratch_store_dwordx4 off, v[30:33], off offset:304
	v_rcp_f32_e32 v2, v1
	v_mov_b32_e32 v4, 63
	v_mov_b32_e32 v32, 0xd1
	;; [unrolled: 1-line block ×4, first 2 shown]
	scratch_store_dwordx4 off, v[30:33], off offset:320
	v_mov_b32_e32 v7, 0x7f
	scratch_store_dwordx4 off, v[4:7], off offset:272
	v_mov_b32_e32 v31, 0xba
	v_mov_b32_e32 v30, v5
	;; [unrolled: 1-line block ×4, first 2 shown]
	scratch_store_dwordx4 off, v[30:33], off offset:336
	v_mov_b32_e32 v7, 19
	v_mov_b32_e32 v4, v5
	;; [unrolled: 1-line block ×6, first 2 shown]
	scratch_store_dwordx4 off, v[30:33], off offset:352
	v_cvt_f32_i32_e32 v9, v8
	scratch_store_dwordx4 off, v[4:7], off offset:432
	v_mov_b32_e32 v32, 0x74
	v_mov_b32_e32 v30, v6
	;; [unrolled: 1-line block ×4, first 2 shown]
	scratch_store_dwordx4 off, v[30:33], off offset:368
	v_mov_b32_e32 v4, 0x4e
	v_mov_b32_e32 v7, 0x62
	;; [unrolled: 1-line block ×6, first 2 shown]
	scratch_store_dwordx4 off, v[30:33], off offset:384
	v_fma_f32 v3, -v1, v2, 1.0
	scratch_store_dwordx4 off, v[4:7], off offset:480
	v_mov_b32_e32 v30, 0x46
	v_mov_b32_e32 v33, 47
	;; [unrolled: 1-line block ×4, first 2 shown]
	scratch_store_dwordx4 off, v[30:33], off offset:400
	v_mov_b32_e32 v4, 0x9c
	v_mov_b32_e32 v7, 0xb0
	v_mov_b32_e32 v32, 24
	v_mov_b32_e32 v30, v6
	v_mov_b32_e32 v31, v5
	v_mov_b32_e32 v33, v6
	scratch_store_dwordx4 off, v[30:33], off offset:416
	v_fmac_f32_e32 v2, v3, v2
	v_div_scale_f32 v3, vcc, v11, v10, v11
	v_mov_b32_e32 v32, 39
	v_mov_b32_e32 v30, v5
	;; [unrolled: 1-line block ×4, first 2 shown]
	scratch_store_dwordx4 off, v[30:33], off offset:448
	scratch_store_dwordx4 off, v[4:7], off offset:528
	s_movk_i32 s6, 0x204
	v_mov_b32_e32 v31, 58
	v_mov_b32_e32 v30, v6
	;; [unrolled: 1-line block ×4, first 2 shown]
	scratch_store_dwordx4 off, v[30:33], off offset:464
	v_mul_f32_e32 v7, v3, v2
	v_fma_f32 v13, -v1, v7, v3
	v_mov_b32_e32 v32, 0x75
	v_mov_b32_e32 v30, v5
	;; [unrolled: 1-line block ×4, first 2 shown]
	scratch_store_dwordx4 off, v[30:33], off offset:496
	v_fmac_f32_e32 v7, v13, v2
	v_div_scale_f32 v13, s[2:3], v10, v10, v9
	v_mov_b32_e32 v31, 0x89
	v_mov_b32_e32 v30, v6
	;; [unrolled: 1-line block ×4, first 2 shown]
	scratch_store_dwordx4 off, v[30:33], off offset:512
	v_fma_f32 v1, -v1, v7, v3
	v_div_fmas_f32 v1, v1, v2, v7
	v_mov_b32_e32 v32, 0xc4
	v_mov_b32_e32 v30, v5
	;; [unrolled: 1-line block ×4, first 2 shown]
	scratch_store_dwordx4 off, v[30:33], off offset:544
	v_div_fixup_f32 v3, v1, v10, v11
	v_mov_b32_e32 v4, 0xeb
	v_mov_b32_e32 v31, 0xd7
	;; [unrolled: 1-line block ×5, first 2 shown]
	scratch_store_dwordx4 off, v[30:33], off offset:560
	s_mov_b32 s5, 0x40490fdb
	s_load_dwordx2 s[0:1], s[0:1], 0x0
	v_rcp_f32_e32 v30, v13
	s_nop 0
	v_fma_f32 v1, -v13, v30, 1.0
	v_fmac_f32_e32 v30, v1, v30
	v_div_scale_f32 v1, vcc, v9, v10, v9
	v_mul_f32_e32 v2, v1, v30
	v_fma_f32 v7, -v13, v2, v1
	v_fmac_f32_e32 v2, v7, v30
	v_fma_f32 v1, -v13, v2, v1
	v_div_fmas_f32 v1, v1, v30, v2
	v_div_fixup_f32 v2, v1, v10, v9
	v_pk_fma_f32 v[2:3], s[10:11], v[2:3], s[10:11] op_sel_hi:[0,1,0] neg_lo:[0,0,1] neg_hi:[0,0,1]
	v_div_scale_f32 v1, s[2:3], s11, s11, v3
	v_rcp_f32_e32 v9, v1
	v_mov_b32_e32 v7, v6
	scratch_store_dwordx4 off, v[4:7], off offset:576
	scratch_store_dwordx4 off, v[26:29], off offset:592
	;; [unrolled: 1-line block ×5, first 2 shown]
	v_fma_f32 v4, -v1, v9, 1.0
	v_fmac_f32_e32 v9, v4, v9
	v_div_scale_f32 v4, vcc, v3, s11, v3
	v_mul_f32_e32 v5, v4, v9
	v_fma_f32 v6, -v1, v5, v4
	v_fmac_f32_e32 v5, v6, v9
	v_fma_f32 v1, -v1, v5, v4
	v_div_scale_f32 v4, s[2:3], s11, s11, v2
	v_rcp_f32_e32 v6, v4
	v_div_fmas_f32 v1, v1, v9, v5
	v_div_fixup_f32 v11, v1, s11, v3
	scratch_store_dword off, v0, off offset:656
	v_fma_f32 v1, -v4, v6, 1.0
	v_fmac_f32_e32 v6, v1, v6
	v_div_scale_f32 v1, vcc, v2, s11, v2
	v_mul_f32_e32 v3, v1, v6
	v_fma_f32 v5, -v4, v3, v1
	v_fmac_f32_e32 v3, v5, v6
	v_fma_f32 v1, -v4, v3, v1
	v_div_fmas_f32 v1, v1, v6, v3
	v_div_fixup_f32 v10, v1, s11, v2
	v_max_f32_e64 v4, |v10|, |v11|
	v_frexp_mant_f32_e32 v5, v4
	v_rcp_f32_e32 v5, v5
	v_min_f32_e64 v3, |v10|, |v11|
	v_frexp_exp_i32_f32_e32 v4, v4
	v_frexp_exp_i32_f32_e32 v6, v3
	v_frexp_mant_f32_e32 v3, v3
	v_mul_f32_e32 v3, v3, v5
	v_sub_u32_e32 v4, v6, v4
	v_ldexp_f32 v3, v3, v4
	v_mul_f32_e32 v4, v3, v3
	v_mov_b32_e32 v5, 0xbc7a590c
	v_fmac_f32_e32 v5, 0x3b2d2a58, v4
	v_fmaak_f32 v5, v4, v5, 0x3d29fb3f
	v_fmaak_f32 v5, v4, v5, 0xbd97d4d7
	;; [unrolled: 1-line block ×6, first 2 shown]
	v_mul_f32_e32 v4, v4, v5
	v_fmac_f32_e32 v3, v3, v4
	v_sub_f32_e32 v4, 0x3fc90fdb, v3
	v_cmp_gt_f32_e64 vcc, |v11|, |v10|
	v_xor_b32_e32 v2, 0x80000000, v10
	v_cmp_gt_i32_e64 s[2:3], 0, v2
	v_cndmask_b32_e32 v3, v3, v4, vcc
	v_sub_f32_e32 v4, 0x40490fdb, v3
	v_cmp_lt_f32_e32 vcc, 0, v10
	v_xor_b32_e32 v1, 0x80000000, v11
	v_ashrrev_i32_e32 v9, 31, v8
	v_cndmask_b32_e32 v3, v3, v4, vcc
	v_mov_b32_e32 v4, 0x40490fdb
	v_cndmask_b32_e64 v2, 0, v4, s[2:3]
	v_cmp_eq_f32_e64 s[2:3], 0, v11
	v_mov_b32_e32 v4, 0x4016cbe4
	s_nop 0
	v_cndmask_b32_e64 v2, v3, v2, s[2:3]
	v_mov_b32_e32 v3, 0x3f490fdb
	v_cmp_class_f32_e64 s[2:3], v10, s6
	v_cmp_class_f32_e64 s[6:7], v11, s6
	v_cndmask_b32_e32 v3, v3, v4, vcc
	s_and_b64 vcc, s[6:7], s[2:3]
	v_cndmask_b32_e32 v2, v2, v3, vcc
	v_mov_b32_e32 v3, 0x7fc00000
	v_cmp_o_f32_e32 vcc, v10, v11
	s_brev_b32 s2, -2
	v_pk_mul_f32 v[10:11], v[10:11], v[10:11]
	v_cndmask_b32_e32 v2, v3, v2, vcc
	v_bfi_b32 v1, s2, v2, v1
	v_div_scale_f32 v2, s[2:3], s5, s5, v1
	v_rcp_f32_e32 v3, v2
	s_mov_b32 s2, 0
	v_add_f32_e32 v10, v11, v10
	v_mul_f32_e32 v11, 0x4f800000, v10
	v_fma_f32 v4, -v2, v3, 1.0
	v_fmac_f32_e32 v3, v4, v3
	v_div_scale_f32 v4, vcc, v1, s5, v1
	v_mul_f32_e32 v5, v4, v3
	v_fma_f32 v6, -v2, v5, v4
	v_fmac_f32_e32 v5, v6, v3
	v_fma_f32 v2, -v2, v5, v4
	v_div_fmas_f32 v2, v2, v3, v5
	v_div_fixup_f32 v1, v2, s5, v1
	v_add_f32_e32 v1, 1.0, v1
	v_mul_f32_e32 v3, 0.5, v1
	v_mul_f32_e32 v1, 0x42580000, v3
	v_cvt_i32_f32_e32 v7, v1
	s_mov_b32 s5, 0x437f0000
	v_mad_u64_u32 v[0:1], s[6:7], v7, 12, s[2:3]
	scratch_load_dwordx3 v[0:2], v0, off
	v_add_u32_e32 v4, 1, v7
	s_mov_b32 s3, 0x94f2095
	v_mul_hi_i32 v5, v4, s3
	v_lshrrev_b32_e32 v6, 31, v5
	v_lshrrev_b32_e32 v5, 1, v5
	v_add_u32_e32 v5, v5, v6
	v_mul_lo_u32 v5, v5, 55
	v_sub_u32_e32 v4, v4, v5
	v_mad_u64_u32 v[4:5], s[2:3], v4, 12, s[2:3]
	scratch_load_dwordx3 v[4:6], v4, off
	v_mad_i64_i32 v[8:9], s[2:3], v12, s8, v[8:9]
	s_mov_b32 s2, 0xf800000
	s_nop 0
	v_cmp_gt_f32_e32 vcc, s2, v10
	v_cvt_f32_i32_e32 v7, v7
	s_waitcnt vmcnt(1)
	v_cvt_f32_i32_e32 v0, v0
	v_cndmask_b32_e32 v12, v10, v11, vcc
	v_sqrt_f32_e32 v13, v12
	s_waitcnt lgkmcnt(0)
	v_mad_u64_u32 v[10:11], s[0:1], v8, 3, s[0:1]
	v_mov_b32_e32 v8, v11
	v_add_u32_e32 v11, -1, v13
	v_fma_f32 v14, -v11, v13, v12
	v_cmp_ge_f32_e64 s[0:1], 0, v14
	v_add_u32_e32 v14, 1, v13
	v_cvt_f32_i32_e32 v1, v1
	v_cndmask_b32_e64 v11, v13, v11, s[0:1]
	v_fma_f32 v13, -v14, v13, v12
	v_cmp_lt_f32_e64 s[0:1], 0, v13
	s_waitcnt vmcnt(0)
	v_cvt_f32_i32_e32 v4, v4
	v_cvt_f32_i32_e32 v5, v5
	v_cndmask_b32_e64 v11, v11, v14, s[0:1]
	v_mul_f32_e32 v13, 0x37800000, v11
	v_cndmask_b32_e32 v11, v11, v13, vcc
	v_mov_b32_e32 v13, 0x260
	v_cmp_class_f32_e32 vcc, v12, v13
	v_cvt_f32_i32_e32 v2, v2
	v_cvt_f32_i32_e32 v6, v6
	v_cndmask_b32_e32 v11, v11, v12, vcc
	v_div_scale_f32 v12, s[0:1], s5, s5, v0
	v_rcp_f32_e32 v13, v12
	s_mov_b32 s0, 0x42580000
	v_fma_f32 v3, v3, s0, -v7
	v_sub_f32_e32 v7, 1.0, v3
	v_fma_f32 v14, -v12, v13, 1.0
	v_fmac_f32_e32 v13, v14, v13
	v_div_scale_f32 v14, vcc, v0, s5, v0
	v_mul_f32_e32 v15, v14, v13
	v_fma_f32 v16, -v12, v15, v14
	v_fmac_f32_e32 v15, v16, v13
	v_fma_f32 v12, -v12, v15, v14
	v_div_scale_f32 v14, s[0:1], s5, s5, v4
	v_rcp_f32_e32 v16, v14
	v_div_fmas_f32 v12, v12, v13, v15
	v_div_fixup_f32 v0, v12, s5, v0
	v_fma_f32 v12, -v14, v16, 1.0
	v_fmac_f32_e32 v16, v12, v16
	v_div_scale_f32 v12, vcc, v4, s5, v4
	v_mul_f32_e32 v13, v12, v16
	v_fma_f32 v15, -v14, v13, v12
	v_fmac_f32_e32 v13, v15, v16
	v_fma_f32 v12, -v14, v13, v12
	v_div_fmas_f32 v12, v12, v16, v13
	v_div_fixup_f32 v4, v12, s5, v4
	v_mul_f32_e32 v4, v3, v4
	v_fmac_f32_e32 v4, v7, v0
	v_div_scale_f32 v12, s[0:1], s5, s5, v1
	v_sub_f32_e32 v0, 1.0, v4
	v_rcp_f32_e32 v13, v12
	v_fma_f32 v0, -v11, v0, 1.0
	v_mul_f32_e32 v4, 0x3f400000, v4
	v_cmp_nge_f32_e64 s[0:1], 1.0, v11
	s_nop 1
	v_cndmask_b32_e64 v0, v0, v4, s[0:1]
	v_mul_f32_e32 v0, 0x437f0000, v0
	v_cvt_i32_f32_e32 v4, v0
	v_fma_f32 v0, -v12, v13, 1.0
	v_fmac_f32_e32 v13, v0, v13
	v_div_scale_f32 v0, vcc, v1, s5, v1
	v_mul_f32_e32 v14, v0, v13
	v_fma_f32 v15, -v12, v14, v0
	v_fmac_f32_e32 v14, v15, v13
	v_fma_f32 v0, -v12, v14, v0
	v_div_scale_f32 v12, s[2:3], s5, s5, v5
	v_rcp_f32_e32 v15, v12
	v_div_fmas_f32 v0, v0, v13, v14
	v_div_fixup_f32 v0, v0, s5, v1
	v_fma_f32 v1, -v12, v15, 1.0
	v_fmac_f32_e32 v15, v1, v15
	v_div_scale_f32 v1, vcc, v5, s5, v5
	v_mul_f32_e32 v13, v1, v15
	v_fma_f32 v14, -v12, v13, v1
	v_fmac_f32_e32 v13, v14, v15
	v_fma_f32 v1, -v12, v13, v1
	v_div_fmas_f32 v1, v1, v15, v13
	v_div_fixup_f32 v1, v1, s5, v5
	v_mul_f32_e32 v1, v3, v1
	v_fmac_f32_e32 v1, v7, v0
	v_div_scale_f32 v5, s[2:3], s5, s5, v2
	v_sub_f32_e32 v0, 1.0, v1
	v_rcp_f32_e32 v12, v5
	v_fma_f32 v0, -v11, v0, 1.0
	v_mul_f32_e32 v1, 0x3f400000, v1
	v_cndmask_b32_e64 v0, v0, v1, s[0:1]
	v_mul_f32_e32 v0, 0x437f0000, v0
	v_cvt_i32_f32_sdwa v13, v0 dst_sel:BYTE_1 dst_unused:UNUSED_PAD src0_sel:DWORD
	v_fma_f32 v0, -v5, v12, 1.0
	v_fmac_f32_e32 v12, v0, v12
	v_div_scale_f32 v0, vcc, v2, s5, v2
	v_mul_f32_e32 v1, v0, v12
	v_fma_f32 v14, -v5, v1, v0
	v_fmac_f32_e32 v1, v14, v12
	v_fma_f32 v0, -v5, v1, v0
	v_div_scale_f32 v5, s[2:3], s5, s5, v6
	v_rcp_f32_e32 v14, v5
	v_div_fmas_f32 v0, v0, v12, v1
	v_div_fixup_f32 v0, v0, s5, v2
	v_fma_f32 v1, -v5, v14, 1.0
	v_fmac_f32_e32 v14, v1, v14
	v_div_scale_f32 v1, vcc, v6, s5, v6
	v_mul_f32_e32 v2, v1, v14
	v_fma_f32 v12, -v5, v2, v1
	v_fmac_f32_e32 v2, v12, v14
	v_fma_f32 v1, -v5, v2, v1
	v_div_fmas_f32 v1, v1, v14, v2
	v_div_fixup_f32 v1, v1, s5, v6
	v_mul_f32_e32 v1, v3, v1
	v_fmac_f32_e32 v1, v7, v0
	v_sub_f32_e32 v0, 1.0, v1
	v_fma_f32 v0, -v11, v0, 1.0
	v_mul_f32_e32 v1, 0x3f400000, v1
	v_cndmask_b32_e64 v0, v0, v1, s[0:1]
	v_mul_f32_e32 v0, 0x437f0000, v0
	v_cvt_i32_f32_e32 v2, v0
	v_mad_u64_u32 v[0:1], s[0:1], v9, 3, v[8:9]
	v_mov_b32_e32 v11, v0
	v_bitop3_b16 v0, v2, v13, s4 bitop3:0xec
	global_store_byte v[10:11], v4, off offset:2
	global_store_short v[10:11], v0, off
.LBB0_3:
	s_endpgm
	.section	.rodata,"a",@progbits
	.p2align	6, 0x0
	.amdhsa_kernel _Z5colorPhiiff
		.amdhsa_group_segment_fixed_size 0
		.amdhsa_private_segment_fixed_size 672
		.amdhsa_kernarg_size 280
		.amdhsa_user_sgpr_count 2
		.amdhsa_user_sgpr_dispatch_ptr 0
		.amdhsa_user_sgpr_queue_ptr 0
		.amdhsa_user_sgpr_kernarg_segment_ptr 1
		.amdhsa_user_sgpr_dispatch_id 0
		.amdhsa_user_sgpr_kernarg_preload_length 0
		.amdhsa_user_sgpr_kernarg_preload_offset 0
		.amdhsa_user_sgpr_private_segment_size 0
		.amdhsa_uses_dynamic_stack 0
		.amdhsa_enable_private_segment 1
		.amdhsa_system_sgpr_workgroup_id_x 1
		.amdhsa_system_sgpr_workgroup_id_y 1
		.amdhsa_system_sgpr_workgroup_id_z 0
		.amdhsa_system_sgpr_workgroup_info 0
		.amdhsa_system_vgpr_workitem_id 1
		.amdhsa_next_free_vgpr 34
		.amdhsa_next_free_sgpr 24
		.amdhsa_accum_offset 36
		.amdhsa_reserve_vcc 1
		.amdhsa_float_round_mode_32 0
		.amdhsa_float_round_mode_16_64 0
		.amdhsa_float_denorm_mode_32 3
		.amdhsa_float_denorm_mode_16_64 3
		.amdhsa_dx10_clamp 1
		.amdhsa_ieee_mode 1
		.amdhsa_fp16_overflow 0
		.amdhsa_tg_split 0
		.amdhsa_exception_fp_ieee_invalid_op 0
		.amdhsa_exception_fp_denorm_src 0
		.amdhsa_exception_fp_ieee_div_zero 0
		.amdhsa_exception_fp_ieee_overflow 0
		.amdhsa_exception_fp_ieee_underflow 0
		.amdhsa_exception_fp_ieee_inexact 0
		.amdhsa_exception_int_div_zero 0
	.end_amdhsa_kernel
	.text
.Lfunc_end0:
	.size	_Z5colorPhiiff, .Lfunc_end0-_Z5colorPhiiff
                                        ; -- End function
	.set _Z5colorPhiiff.num_vgpr, 34
	.set _Z5colorPhiiff.num_agpr, 0
	.set _Z5colorPhiiff.numbered_sgpr, 24
	.set _Z5colorPhiiff.num_named_barrier, 0
	.set _Z5colorPhiiff.private_seg_size, 672
	.set _Z5colorPhiiff.uses_vcc, 1
	.set _Z5colorPhiiff.uses_flat_scratch, 0
	.set _Z5colorPhiiff.has_dyn_sized_stack, 0
	.set _Z5colorPhiiff.has_recursion, 0
	.set _Z5colorPhiiff.has_indirect_call, 0
	.section	.AMDGPU.csdata,"",@progbits
; Kernel info:
; codeLenInByte = 2752
; TotalNumSgprs: 30
; NumVgprs: 34
; NumAgprs: 0
; TotalNumVgprs: 34
; ScratchSize: 672
; MemoryBound: 0
; FloatMode: 240
; IeeeMode: 1
; LDSByteSize: 0 bytes/workgroup (compile time only)
; SGPRBlocks: 3
; VGPRBlocks: 4
; NumSGPRsForWavesPerEU: 30
; NumVGPRsForWavesPerEU: 34
; AccumOffset: 36
; Occupancy: 8
; WaveLimiterHint : 0
; COMPUTE_PGM_RSRC2:SCRATCH_EN: 1
; COMPUTE_PGM_RSRC2:USER_SGPR: 2
; COMPUTE_PGM_RSRC2:TRAP_HANDLER: 0
; COMPUTE_PGM_RSRC2:TGID_X_EN: 1
; COMPUTE_PGM_RSRC2:TGID_Y_EN: 1
; COMPUTE_PGM_RSRC2:TGID_Z_EN: 0
; COMPUTE_PGM_RSRC2:TIDIG_COMP_CNT: 1
; COMPUTE_PGM_RSRC3_GFX90A:ACCUM_OFFSET: 8
; COMPUTE_PGM_RSRC3_GFX90A:TG_SPLIT: 0
	.text
	.p2alignl 6, 3212836864
	.fill 256, 4, 3212836864
	.section	.AMDGPU.gpr_maximums,"",@progbits
	.set amdgpu.max_num_vgpr, 0
	.set amdgpu.max_num_agpr, 0
	.set amdgpu.max_num_sgpr, 0
	.text
	.type	__hip_cuid_d2a9e75cf7326826,@object ; @__hip_cuid_d2a9e75cf7326826
	.section	.bss,"aw",@nobits
	.globl	__hip_cuid_d2a9e75cf7326826
__hip_cuid_d2a9e75cf7326826:
	.byte	0                               ; 0x0
	.size	__hip_cuid_d2a9e75cf7326826, 1

	.ident	"AMD clang version 22.0.0git (https://github.com/RadeonOpenCompute/llvm-project roc-7.2.4 26084 f58b06dce1f9c15707c5f808fd002e18c2accf7e)"
	.section	".note.GNU-stack","",@progbits
	.addrsig
	.addrsig_sym __hip_cuid_d2a9e75cf7326826
	.amdgpu_metadata
---
amdhsa.kernels:
  - .agpr_count:     0
    .args:
      - .address_space:  global
        .offset:         0
        .size:           8
        .value_kind:     global_buffer
      - .offset:         8
        .size:           4
        .value_kind:     by_value
      - .offset:         12
        .size:           4
        .value_kind:     by_value
      - .offset:         16
        .size:           4
        .value_kind:     by_value
      - .offset:         20
        .size:           4
        .value_kind:     by_value
      - .offset:         24
        .size:           4
        .value_kind:     hidden_block_count_x
      - .offset:         28
        .size:           4
        .value_kind:     hidden_block_count_y
      - .offset:         32
        .size:           4
        .value_kind:     hidden_block_count_z
      - .offset:         36
        .size:           2
        .value_kind:     hidden_group_size_x
      - .offset:         38
        .size:           2
        .value_kind:     hidden_group_size_y
      - .offset:         40
        .size:           2
        .value_kind:     hidden_group_size_z
      - .offset:         42
        .size:           2
        .value_kind:     hidden_remainder_x
      - .offset:         44
        .size:           2
        .value_kind:     hidden_remainder_y
      - .offset:         46
        .size:           2
        .value_kind:     hidden_remainder_z
      - .offset:         64
        .size:           8
        .value_kind:     hidden_global_offset_x
      - .offset:         72
        .size:           8
        .value_kind:     hidden_global_offset_y
      - .offset:         80
        .size:           8
        .value_kind:     hidden_global_offset_z
      - .offset:         88
        .size:           2
        .value_kind:     hidden_grid_dims
    .group_segment_fixed_size: 0
    .kernarg_segment_align: 8
    .kernarg_segment_size: 280
    .language:       OpenCL C
    .language_version:
      - 2
      - 0
    .max_flat_workgroup_size: 1024
    .name:           _Z5colorPhiiff
    .private_segment_fixed_size: 672
    .sgpr_count:     30
    .sgpr_spill_count: 0
    .symbol:         _Z5colorPhiiff.kd
    .uniform_work_group_size: 1
    .uses_dynamic_stack: false
    .vgpr_count:     34
    .vgpr_spill_count: 0
    .wavefront_size: 64
amdhsa.target:   amdgcn-amd-amdhsa--gfx950
amdhsa.version:
  - 1
  - 2
...

	.end_amdgpu_metadata
